;; amdgpu-corpus repo=ROCm/rocFFT kind=compiled arch=gfx1030 opt=O3
	.text
	.amdgcn_target "amdgcn-amd-amdhsa--gfx1030"
	.amdhsa_code_object_version 6
	.protected	fft_rtc_back_len200_factors_2_4_5_5_wgs_320_tpt_20_dim3_sp_ip_CI_sbcc_twdbase8_3step_dirReg_intrinsicReadWrite ; -- Begin function fft_rtc_back_len200_factors_2_4_5_5_wgs_320_tpt_20_dim3_sp_ip_CI_sbcc_twdbase8_3step_dirReg_intrinsicReadWrite
	.globl	fft_rtc_back_len200_factors_2_4_5_5_wgs_320_tpt_20_dim3_sp_ip_CI_sbcc_twdbase8_3step_dirReg_intrinsicReadWrite
	.p2align	8
	.type	fft_rtc_back_len200_factors_2_4_5_5_wgs_320_tpt_20_dim3_sp_ip_CI_sbcc_twdbase8_3step_dirReg_intrinsicReadWrite,@function
fft_rtc_back_len200_factors_2_4_5_5_wgs_320_tpt_20_dim3_sp_ip_CI_sbcc_twdbase8_3step_dirReg_intrinsicReadWrite: ; @fft_rtc_back_len200_factors_2_4_5_5_wgs_320_tpt_20_dim3_sp_ip_CI_sbcc_twdbase8_3step_dirReg_intrinsicReadWrite
; %bb.0:
	s_load_dwordx4 s[0:3], s[4:5], 0x10
	s_mov_b32 s7, 0
	s_mov_b64 s[20:21], 0
	s_waitcnt lgkmcnt(0)
	s_load_dwordx2 s[10:11], s[0:1], 0x8
	s_waitcnt lgkmcnt(0)
	s_add_u32 s8, s10, -1
	s_addc_u32 s9, s11, -1
	s_lshr_b64 s[8:9], s[8:9], 4
	s_add_u32 s18, s8, 1
	s_addc_u32 s19, s9, 0
	v_cmp_lt_u64_e64 s8, s[6:7], s[18:19]
	s_and_b32 vcc_lo, exec_lo, s8
	s_cbranch_vccnz .LBB0_2
; %bb.1:
	v_cvt_f32_u32_e32 v1, s18
	s_sub_i32 s9, 0, s18
	s_mov_b32 s21, s7
	v_rcp_iflag_f32_e32 v1, v1
	v_mul_f32_e32 v1, 0x4f7ffffe, v1
	v_cvt_u32_f32_e32 v1, v1
	v_readfirstlane_b32 s8, v1
	s_mul_i32 s9, s9, s8
	s_mul_hi_u32 s9, s8, s9
	s_add_i32 s8, s8, s9
	s_mul_hi_u32 s8, s6, s8
	s_mul_i32 s9, s8, s18
	s_add_i32 s12, s8, 1
	s_sub_i32 s9, s6, s9
	s_sub_i32 s13, s9, s18
	s_cmp_ge_u32 s9, s18
	s_cselect_b32 s8, s12, s8
	s_cselect_b32 s9, s13, s9
	s_add_i32 s12, s8, 1
	s_cmp_ge_u32 s9, s18
	s_cselect_b32 s20, s12, s8
.LBB0_2:
	s_load_dwordx2 s[22:23], s[0:1], 0x10
	s_load_dwordx2 s[8:9], s[4:5], 0x50
	s_load_dwordx4 s[12:15], s[2:3], 0x0
	s_waitcnt lgkmcnt(0)
	v_cmp_lt_u64_e64 s0, s[20:21], s[22:23]
	s_and_b32 vcc_lo, exec_lo, s0
	s_mov_b64 s[0:1], s[20:21]
	s_cbranch_vccnz .LBB0_4
; %bb.3:
	v_cvt_f32_u32_e32 v1, s22
	s_sub_i32 s1, 0, s22
	v_rcp_iflag_f32_e32 v1, v1
	v_mul_f32_e32 v1, 0x4f7ffffe, v1
	v_cvt_u32_f32_e32 v1, v1
	v_readfirstlane_b32 s0, v1
	s_mul_i32 s1, s1, s0
	s_mul_hi_u32 s1, s0, s1
	s_add_i32 s0, s0, s1
	s_mul_hi_u32 s0, s20, s0
	s_mul_i32 s0, s0, s22
	s_sub_i32 s0, s20, s0
	s_sub_i32 s1, s0, s22
	s_cmp_ge_u32 s0, s22
	s_cselect_b32 s0, s1, s0
	s_sub_i32 s1, s0, s22
	s_cmp_ge_u32 s0, s22
	s_cselect_b32 s0, s1, s0
.LBB0_4:
	s_load_dwordx2 s[16:17], s[4:5], 0x0
	s_load_dwordx2 s[24:25], s[2:3], 0x10
	s_mul_i32 s1, s22, s19
	s_mul_hi_u32 s13, s22, s18
	s_mul_i32 s26, s22, s18
	s_add_i32 s1, s13, s1
	s_mul_i32 s13, s23, s18
	s_mov_b64 s[22:23], 0
	s_add_i32 s27, s1, s13
	v_cmp_lt_u64_e64 s1, s[6:7], s[26:27]
	s_and_b32 vcc_lo, exec_lo, s1
	s_cbranch_vccnz .LBB0_6
; %bb.5:
	v_cvt_f32_u32_e32 v1, s26
	s_sub_i32 s7, 0, s26
	v_rcp_iflag_f32_e32 v1, v1
	v_mul_f32_e32 v1, 0x4f7ffffe, v1
	v_cvt_u32_f32_e32 v1, v1
	v_readfirstlane_b32 s1, v1
	s_mul_i32 s7, s7, s1
	s_mul_hi_u32 s7, s1, s7
	s_add_i32 s1, s1, s7
	s_mul_hi_u32 s1, s6, s1
	s_mul_i32 s7, s1, s26
	s_add_i32 s13, s1, 1
	s_sub_i32 s7, s6, s7
	s_sub_i32 s21, s7, s26
	s_cmp_ge_u32 s7, s26
	s_cselect_b32 s1, s13, s1
	s_cselect_b32 s7, s21, s7
	s_add_i32 s13, s1, 1
	s_cmp_ge_u32 s7, s26
	s_cselect_b32 s22, s13, s1
.LBB0_6:
	s_load_dword s2, s[2:3], 0x18
	s_mul_i32 s1, s20, s19
	s_mul_hi_u32 s3, s20, s18
	s_mul_i32 s7, s20, s18
	v_lshrrev_b32_e32 v35, 4, v0
	s_add_i32 s3, s3, s1
	s_waitcnt lgkmcnt(0)
	s_mul_i32 s13, s24, s0
	s_sub_u32 s0, s6, s7
	s_subb_u32 s1, 0, s3
	v_and_b32_e32 v1, 15, v0
	v_add_nc_u32_e32 v3, 0x64, v35
	s_lshl_b64 s[0:1], s[0:1], 4
	v_add_nc_u32_e32 v4, 0x78, v35
	v_add_nc_u32_e32 v34, 20, v35
	s_mul_i32 s3, s14, s0
	v_mad_u64_u32 v[17:18], null, s14, v1, 0
	s_add_i32 s13, s13, s3
	v_or_b32_e32 v19, s0, v1
	v_mov_b32_e32 v20, s1
	s_mul_i32 s2, s2, s22
	v_mul_lo_u32 v3, s12, v3
	s_add_i32 s2, s2, s13
	v_mul_lo_u32 v4, s12, v4
	s_add_u32 s0, s0, 16
	v_mul_lo_u32 v5, s12, v34
	s_addc_u32 s1, s1, 0
	v_add_nc_u32_e32 v40, 40, v35
	v_cmp_gt_u64_e32 vcc_lo, s[10:11], v[19:20]
	v_cmp_le_u64_e64 s0, s[0:1], s[10:11]
	v_mul_lo_u32 v2, s12, v35
	v_add_lshl_u32 v3, v17, v3, 3
	v_mul_lo_u32 v6, s12, v40
	v_add_lshl_u32 v4, v17, v4, 3
	v_add_lshl_u32 v5, v17, v5, 3
	s_or_b32 vcc_lo, s0, vcc_lo
	v_add_nc_u32_e32 v39, 0x50, v35
	v_cndmask_b32_e32 v7, -1, v3, vcc_lo
	v_add_nc_u32_e32 v3, 0x8c, v35
	v_cndmask_b32_e32 v9, -1, v4, vcc_lo
	;; [unrolled: 2-line block ×3, first 2 shown]
	v_or_b32_e32 v5, 0xa0, v35
	v_add_lshl_u32 v2, v17, v2, 3
	v_add_lshl_u32 v11, v17, v6, 3
	v_add_nc_u32_e32 v6, 0xb4, v35
	v_mul_lo_u32 v12, s12, v3
	v_mul_lo_u32 v13, s12, v4
	;; [unrolled: 1-line block ×3, first 2 shown]
	v_cndmask_b32_e32 v2, -1, v2, vcc_lo
	v_mul_lo_u32 v15, s12, v39
	v_mul_lo_u32 v16, s12, v6
	s_lshl_b32 s1, s2, 3
	s_mov_b32 s11, 0x31014000
	s_mov_b32 s10, -2
	s_clause 0x3
	buffer_load_dwordx2 v[3:4], v2, s[8:11], s1 offen
	buffer_load_dwordx2 v[5:6], v7, s[8:11], s1 offen
	;; [unrolled: 1-line block ×4, first 2 shown]
	v_cndmask_b32_e32 v2, -1, v11, vcc_lo
	v_add_lshl_u32 v11, v17, v12, 3
	v_add_lshl_u32 v12, v17, v13, 3
	;; [unrolled: 1-line block ×5, first 2 shown]
	v_cndmask_b32_e32 v16, -1, v11, vcc_lo
	v_cndmask_b32_e32 v20, -1, v12, vcc_lo
	v_cndmask_b32_e32 v21, -1, v13, vcc_lo
	v_cndmask_b32_e32 v22, -1, v14, vcc_lo
	v_cndmask_b32_e32 v23, -1, v15, vcc_lo
	s_clause 0x5
	buffer_load_dwordx2 v[11:12], v2, s[8:11], s1 offen
	buffer_load_dwordx2 v[13:14], v16, s[8:11], s1 offen
	;; [unrolled: 1-line block ×6, first 2 shown]
	v_lshlrev_b32_e32 v2, 8, v35
	v_lshlrev_b32_e32 v36, 3, v1
	v_lshlrev_b32_e32 v26, 7, v35
	v_lshlrev_b32_e32 v27, 8, v34
	v_lshlrev_b32_e32 v29, 8, v39
	v_lshlrev_b32_e32 v30, 7, v34
	v_add3_u32 v28, 0, v2, v36
	v_lshl_add_u32 v2, v40, 8, 0
	v_add3_u32 v31, 0, v27, v36
	v_add3_u32 v29, 0, v29, v36
	v_cmp_gt_u32_e64 s0, 0xa0, v0
	v_sub_nc_u32_e32 v37, v28, v26
	v_add_nc_u32_e32 v32, v2, v36
	v_add_nc_u32_e32 v33, 0x3800, v28
	v_sub_nc_u32_e32 v38, v31, v30
	v_add_nc_u32_e32 v41, 0x100, v37
	s_waitcnt vmcnt(8)
	v_sub_f32_e32 v5, v3, v5
	v_sub_f32_e32 v6, v4, v6
	s_waitcnt vmcnt(6)
	v_sub_f32_e32 v9, v7, v9
	v_sub_f32_e32 v10, v8, v10
	v_fma_f32 v3, v3, 2.0, -v5
	v_fma_f32 v4, v4, 2.0, -v6
	;; [unrolled: 1-line block ×4, first 2 shown]
	s_waitcnt vmcnt(4)
	v_sub_f32_e32 v13, v11, v13
	v_sub_f32_e32 v14, v12, v14
	s_waitcnt vmcnt(2)
	v_sub_f32_e32 v26, v15, v20
	v_sub_f32_e32 v27, v16, v21
	s_waitcnt vmcnt(0)
	v_sub_f32_e32 v22, v24, v22
	v_sub_f32_e32 v23, v25, v23
	v_fma_f32 v11, v11, 2.0, -v13
	v_fma_f32 v12, v12, 2.0, -v14
	;; [unrolled: 1-line block ×6, first 2 shown]
	ds_write2_b64 v28, v[3:4], v[5:6] offset1:16
	ds_write2_b64 v31, v[7:8], v[9:10] offset1:16
	;; [unrolled: 1-line block ×3, first 2 shown]
	ds_write2_b64 v33, v[15:16], v[26:27] offset0:128 offset1:144
	ds_write2_b64 v29, v[20:21], v[22:23] offset1:16
	s_waitcnt lgkmcnt(0)
	s_barrier
	buffer_gl0_inv
	ds_read2st64_b64 v[13:16], v41 offset0:12 offset1:17
	ds_read2st64_b64 v[9:12], v37 offset0:25 offset1:30
	;; [unrolled: 1-line block ×3, first 2 shown]
	ds_read_b64 v[32:33], v37
	ds_read_b64 v[30:31], v38
	v_mov_b32_e32 v3, v18
	v_lshlrev_b32_e32 v18, 7, v40
                                        ; implicit-def: $vgpr27
                                        ; implicit-def: $vgpr25
	v_mad_u64_u32 v[3:4], null, s15, v1, v[3:4]
	s_and_saveexec_b32 s2, s0
	s_cbranch_execz .LBB0_8
; %bb.7:
	v_sub_nc_u32_e32 v2, v2, v18
	v_lshl_add_u32 v1, v1, 3, v2
	ds_read_b64 v[22:23], v37 offset:11520
	ds_read_b64 v[24:25], v37 offset:17920
	ds_read_b64 v[20:21], v1
	ds_read_b64 v[26:27], v37 offset:24320
.LBB0_8:
	s_or_b32 exec_lo, exec_lo, s2
	v_bfe_u32 v41, v0, 4, 1
	v_lshlrev_b32_e32 v42, 2, v35
	v_lshlrev_b32_e32 v43, 2, v34
	v_mul_u32_u24_e32 v1, 3, v41
	v_and_or_b32 v42, 0xf8, v42, v41
	v_and_or_b32 v43, 0x1f8, v43, v41
	v_lshlrev_b32_e32 v28, 3, v1
	v_lshlrev_b32_e32 v42, 7, v42
	;; [unrolled: 1-line block ×3, first 2 shown]
	s_clause 0x1
	global_load_dwordx4 v[1:4], v28, s[16:17]
	global_load_dwordx2 v[28:29], v28, s[16:17] offset:16
	v_add3_u32 v42, 0, v42, v36
	v_add3_u32 v43, 0, v43, v36
	s_waitcnt vmcnt(0) lgkmcnt(0)
	s_barrier
	buffer_gl0_inv
	v_mul_f32_e32 v44, v2, v14
	v_mul_f32_e32 v45, v2, v13
	;; [unrolled: 1-line block ×12, first 2 shown]
	v_fmac_f32_e32 v44, v1, v13
	v_fma_f32 v13, v1, v14, -v45
	v_fmac_f32_e32 v46, v3, v9
	v_fma_f32 v9, v3, v10, -v47
	;; [unrolled: 2-line block ×6, first 2 shown]
	v_sub_f32_e32 v11, v32, v46
	v_sub_f32_e32 v12, v33, v9
	;; [unrolled: 1-line block ×8, first 2 shown]
	v_fma_f32 v32, v32, 2.0, -v11
	v_fma_f32 v33, v33, 2.0, -v12
	;; [unrolled: 1-line block ×8, first 2 shown]
	v_add_f32_e32 v5, v11, v5
	v_sub_f32_e32 v6, v12, v8
	v_sub_f32_e32 v8, v16, v9
	;; [unrolled: 1-line block ×4, first 2 shown]
	v_add_f32_e32 v7, v15, v7
	v_sub_f32_e32 v13, v44, v30
	v_sub_f32_e32 v14, v45, v31
	v_fma_f32 v11, v11, 2.0, -v5
	v_fma_f32 v12, v12, 2.0, -v6
	;; [unrolled: 1-line block ×8, first 2 shown]
	ds_write2_b64 v42, v[9:10], v[5:6] offset0:64 offset1:96
	ds_write2_b64 v42, v[30:31], v[11:12] offset1:32
	ds_write2_b64 v43, v[32:33], v[15:16] offset1:32
	ds_write2_b64 v43, v[13:14], v[7:8] offset0:64 offset1:96
	s_and_saveexec_b32 s2, s0
	s_cbranch_execz .LBB0_10
; %bb.9:
	v_mul_f32_e32 v5, v24, v4
	v_mul_f32_e32 v6, v23, v2
	;; [unrolled: 1-line block ×6, first 2 shown]
	v_fma_f32 v5, v25, v3, -v5
	v_fmac_f32_e32 v6, v22, v1
	v_fma_f32 v1, v23, v1, -v2
	v_fma_f32 v2, v27, v28, -v7
	v_fmac_f32_e32 v4, v24, v3
	v_fmac_f32_e32 v8, v26, v28
	v_sub_f32_e32 v5, v21, v5
	v_sub_f32_e32 v3, v1, v2
	;; [unrolled: 1-line block ×4, first 2 shown]
	v_lshlrev_b32_e32 v4, 2, v40
	v_fma_f32 v8, v21, 2.0, -v5
	v_fma_f32 v9, v1, 2.0, -v3
	;; [unrolled: 1-line block ×4, first 2 shown]
	v_and_or_b32 v11, 0xf8, v4, v41
	v_sub_f32_e32 v2, v5, v2
	v_add_f32_e32 v1, v7, v3
	v_sub_f32_e32 v4, v8, v9
	v_sub_f32_e32 v3, v10, v6
	v_lshlrev_b32_e32 v9, 7, v11
	v_fma_f32 v6, v5, 2.0, -v2
	v_fma_f32 v5, v7, 2.0, -v1
	;; [unrolled: 1-line block ×4, first 2 shown]
	v_add3_u32 v9, 0, v9, v36
	ds_write2_b64 v9, v[7:8], v[5:6] offset1:32
	ds_write2_b64 v9, v[3:4], v[1:2] offset0:64 offset1:96
.LBB0_10:
	s_or_b32 exec_lo, exec_lo, s2
	v_lshlrev_b32_e32 v5, 7, v39
	v_bfe_u32 v33, v0, 4, 3
	v_add3_u32 v18, 0, v18, v36
	s_waitcnt lgkmcnt(0)
	s_barrier
	v_add3_u32 v32, 0, v5, v36
	v_lshlrev_b32_e32 v20, 5, v33
	buffer_gl0_inv
	ds_read2st64_b64 v[1:4], v37 offset1:15
	ds_read_b64 v[24:25], v18
	ds_read_b64 v[26:27], v32
	ds_read2st64_b64 v[5:8], v37 offset0:25 offset1:30
	ds_read2st64_b64 v[9:12], v37 offset0:35 offset1:40
	ds_read_b64 v[28:29], v38
	ds_read_b64 v[30:31], v37 offset:23040
	s_clause 0x1
	global_load_dwordx4 v[13:16], v20, s[16:17] offset:64
	global_load_dwordx4 v[20:23], v20, s[16:17] offset:48
	v_and_b32_e32 v41, 7, v34
	v_cmp_gt_u32_e64 s0, 0x280, v0
	s_load_dwordx2 s[2:3], s[4:5], 0x8
	s_waitcnt vmcnt(0) lgkmcnt(0)
	v_mul_f32_e32 v39, v21, v25
	v_mul_f32_e32 v21, v21, v24
	v_fmac_f32_e32 v39, v20, v24
	v_fma_f32 v24, v20, v25, -v21
	v_mul_f32_e32 v25, v23, v27
	v_mul_f32_e32 v20, v23, v26
	v_fmac_f32_e32 v25, v22, v26
	v_fma_f32 v26, v22, v27, -v20
	v_mul_f32_e32 v27, v14, v8
	v_fmac_f32_e32 v27, v13, v7
	v_mul_f32_e32 v7, v14, v7
	v_fma_f32 v40, v13, v8, -v7
	v_mul_f32_e32 v8, v16, v12
	v_mul_f32_e32 v7, v16, v11
	v_fmac_f32_e32 v8, v15, v11
	v_fma_f32 v15, v15, v12, -v7
	v_lshlrev_b32_e32 v7, 5, v41
	s_clause 0x1
	global_load_dwordx4 v[11:14], v7, s[16:17] offset:64
	global_load_dwordx4 v[20:23], v7, s[16:17] offset:48
	s_waitcnt vmcnt(0)
	s_barrier
	buffer_gl0_inv
	v_mul_f32_e32 v44, v31, v14
	v_mul_f32_e32 v16, v21, v4
	v_fmac_f32_e32 v44, v30, v13
	v_fmac_f32_e32 v16, v20, v3
	v_mul_f32_e32 v3, v21, v3
	v_mul_f32_e32 v21, v6, v23
	v_fma_f32 v42, v20, v4, -v3
	v_mul_f32_e32 v3, v5, v23
	v_add_f32_e32 v4, v25, v27
	v_fmac_f32_e32 v21, v5, v22
	v_mul_f32_e32 v23, v10, v12
	v_fma_f32 v22, v6, v22, -v3
	v_mul_f32_e32 v3, v9, v12
	v_fma_f32 v5, -0.5, v4, v1
	v_sub_f32_e32 v4, v24, v15
	v_fmac_f32_e32 v23, v9, v11
	v_sub_f32_e32 v6, v26, v40
	v_fma_f32 v43, v10, v11, -v3
	v_sub_f32_e32 v9, v39, v25
	v_fmamk_f32 v7, v4, 0xbf737871, v5
	v_sub_f32_e32 v10, v8, v27
	v_fmac_f32_e32 v5, 0x3f737871, v4
	v_mul_f32_e32 v3, v30, v14
	v_sub_f32_e32 v11, v27, v8
	v_fmac_f32_e32 v7, 0xbf167918, v6
	v_add_f32_e32 v9, v9, v10
	v_fmac_f32_e32 v5, 0x3f167918, v6
	v_fma_f32 v30, v31, v13, -v3
	v_add_f32_e32 v3, v1, v39
	v_sub_f32_e32 v10, v25, v39
	v_fmac_f32_e32 v7, 0x3e9e377a, v9
	v_fmac_f32_e32 v5, 0x3e9e377a, v9
	v_add_f32_e32 v9, v39, v8
	v_add_f32_e32 v3, v3, v25
	;; [unrolled: 1-line block ×3, first 2 shown]
	v_sub_f32_e32 v11, v39, v8
	v_sub_f32_e32 v12, v25, v27
	v_fma_f32 v1, -0.5, v9, v1
	v_add_f32_e32 v3, v3, v27
	v_sub_f32_e32 v13, v15, v40
	v_sub_f32_e32 v14, v40, v15
	;; [unrolled: 1-line block ×3, first 2 shown]
	v_fmamk_f32 v9, v6, 0x3f737871, v1
	v_fmac_f32_e32 v1, 0xbf737871, v6
	v_add_f32_e32 v6, v26, v40
	v_add_f32_e32 v3, v3, v8
	v_sub_f32_e32 v25, v23, v44
	v_fmac_f32_e32 v9, 0xbf167918, v4
	v_fmac_f32_e32 v1, 0x3f167918, v4
	v_fma_f32 v6, -0.5, v6, v2
	v_add_f32_e32 v4, v2, v24
	v_fmac_f32_e32 v9, 0x3e9e377a, v10
	v_fmac_f32_e32 v1, 0x3e9e377a, v10
	v_fmamk_f32 v8, v11, 0x3f737871, v6
	v_sub_f32_e32 v10, v24, v26
	v_fmac_f32_e32 v6, 0xbf737871, v11
	v_add_f32_e32 v4, v4, v26
	v_fmac_f32_e32 v8, 0x3f167918, v12
	v_add_f32_e32 v10, v10, v13
	v_fmac_f32_e32 v6, 0xbf167918, v12
	v_sub_f32_e32 v13, v26, v24
	v_add_f32_e32 v4, v4, v40
	v_fmac_f32_e32 v8, 0x3e9e377a, v10
	v_fmac_f32_e32 v6, 0x3e9e377a, v10
	v_add_f32_e32 v10, v24, v15
	v_add_f32_e32 v13, v13, v14
	;; [unrolled: 1-line block ×3, first 2 shown]
	v_sub_f32_e32 v14, v22, v43
	v_sub_f32_e32 v24, v44, v23
	v_fma_f32 v2, -0.5, v10, v2
	v_add_f32_e32 v20, v20, v24
	v_fmamk_f32 v10, v12, 0xbf737871, v2
	v_fmac_f32_e32 v2, 0x3f737871, v12
	v_add_f32_e32 v12, v21, v23
	v_sub_f32_e32 v24, v21, v16
	v_fmac_f32_e32 v10, 0x3f167918, v11
	v_fmac_f32_e32 v2, 0xbf167918, v11
	v_add_f32_e32 v11, v28, v16
	v_add_f32_e32 v24, v24, v25
	v_sub_f32_e32 v25, v30, v43
	v_fmac_f32_e32 v10, 0x3e9e377a, v13
	v_fmac_f32_e32 v2, 0x3e9e377a, v13
	v_fma_f32 v13, -0.5, v12, v28
	v_sub_f32_e32 v12, v42, v30
	v_add_f32_e32 v11, v11, v21
	v_fmamk_f32 v15, v12, 0xbf737871, v13
	v_fmac_f32_e32 v13, 0x3f737871, v12
	v_add_f32_e32 v11, v11, v23
	v_sub_f32_e32 v23, v21, v23
	v_sub_f32_e32 v21, v42, v22
	v_fmac_f32_e32 v15, 0xbf167918, v14
	v_fmac_f32_e32 v13, 0x3f167918, v14
	v_add_f32_e32 v11, v11, v44
	v_add_f32_e32 v21, v21, v25
	v_fmac_f32_e32 v15, 0x3e9e377a, v20
	v_fmac_f32_e32 v13, 0x3e9e377a, v20
	v_add_f32_e32 v20, v16, v44
	v_sub_f32_e32 v25, v43, v30
	v_fma_f32 v28, -0.5, v20, v28
	v_fmamk_f32 v20, v14, 0x3f737871, v28
	v_fmac_f32_e32 v28, 0xbf737871, v14
	v_add_f32_e32 v14, v22, v43
	v_fmac_f32_e32 v20, 0xbf167918, v12
	v_fmac_f32_e32 v28, 0x3f167918, v12
	v_fma_f32 v14, -0.5, v14, v29
	v_add_f32_e32 v12, v29, v42
	v_fmac_f32_e32 v20, 0x3e9e377a, v24
	v_fmac_f32_e32 v28, 0x3e9e377a, v24
	v_sub_f32_e32 v24, v16, v44
	v_add_f32_e32 v12, v12, v22
	v_sub_f32_e32 v22, v22, v42
	v_fmamk_f32 v16, v24, 0x3f737871, v14
	v_fmac_f32_e32 v14, 0xbf737871, v24
	v_add_f32_e32 v22, v22, v25
	v_mov_b32_e32 v25, 0
	v_add_f32_e32 v12, v12, v43
	v_fmac_f32_e32 v16, 0x3f167918, v23
	v_fmac_f32_e32 v14, 0xbf167918, v23
	v_add_f32_e32 v12, v12, v30
	v_fmac_f32_e32 v16, 0x3e9e377a, v21
	v_fmac_f32_e32 v14, 0x3e9e377a, v21
	v_add_f32_e32 v21, v42, v30
	v_fmac_f32_e32 v29, -0.5, v21
	v_fmamk_f32 v21, v23, 0xbf737871, v29
	v_fmac_f32_e32 v29, 0x3f737871, v23
	v_fmac_f32_e32 v21, 0x3f167918, v24
	;; [unrolled: 1-line block ×5, first 2 shown]
	v_lshrrev_b32_e32 v22, 7, v0
	v_mul_u32_u24_e32 v22, 40, v22
	v_or_b32_e32 v22, v22, v33
	v_lshlrev_b32_e32 v22, 7, v22
	v_add3_u32 v22, 0, v22, v36
	ds_write2st64_b64 v22, v[3:4], v[7:8] offset1:2
	ds_write2st64_b64 v22, v[9:10], v[1:2] offset0:4 offset1:6
	ds_write_b64 v22, v[5:6] offset:4096
	v_lshrrev_b32_e32 v1, 3, v34
	v_subrev_nc_u32_e32 v9, 40, v35
	v_mul_u32_u24_e32 v1, 40, v1
	v_cndmask_b32_e64 v10, v9, v35, s0
	v_or_b32_e32 v1, v1, v41
	v_lshlrev_b32_e32 v24, 2, v10
	v_lshlrev_b32_e32 v1, 7, v1
	v_lshlrev_b64 v[24:25], 3, v[24:25]
	v_add3_u32 v1, 0, v1, v36
	ds_write2st64_b64 v1, v[11:12], v[15:16] offset1:2
	ds_write2st64_b64 v1, v[20:21], v[28:29] offset0:4 offset1:6
	ds_write_b64 v1, v[13:14] offset:4096
	v_add_co_u32 v28, s0, s16, v24
	v_add_co_ci_u32_e64 v29, s0, s17, v25, s0
	s_waitcnt lgkmcnt(0)
	s_barrier
	buffer_gl0_inv
	ds_read2st64_b64 v[3:6], v37 offset1:15
	ds_read_b64 v[7:8], v18
	ds_read_b64 v[32:33], v32
	ds_read2st64_b64 v[12:15], v37 offset0:25 offset1:30
	ds_read2st64_b64 v[20:23], v37 offset0:35 offset1:40
	ds_read_b64 v[1:2], v38
	ds_read_b64 v[36:37], v37 offset:23040
	s_clause 0x1
	global_load_dwordx4 v[24:27], v[28:29], off offset:320
	global_load_dwordx4 v[28:31], v[28:29], off offset:304
	v_cmp_lt_u32_e64 s0, 0x27f, v0
	v_cndmask_b32_e64 v0, 0, 0xc8, s0
	v_add_nc_u32_e32 v0, v10, v0
	s_waitcnt vmcnt(0) lgkmcnt(5)
	v_mul_f32_e32 v16, v29, v8
	s_waitcnt lgkmcnt(4)
	v_mul_f32_e32 v9, v31, v32
	v_fmac_f32_e32 v16, v28, v7
	v_mul_f32_e32 v7, v29, v7
	v_fma_f32 v18, v30, v33, -v9
	s_waitcnt lgkmcnt(3)
	v_mul_f32_e32 v9, v25, v14
	v_fma_f32 v7, v28, v8, -v7
	v_mul_f32_e32 v8, v31, v33
	v_fmac_f32_e32 v8, v30, v32
	v_mul_f32_e32 v30, v25, v15
	v_fmac_f32_e32 v30, v24, v14
	v_fma_f32 v14, v24, v15, -v9
	s_waitcnt lgkmcnt(2)
	v_mul_f32_e32 v9, v27, v22
	v_mul_f32_e32 v15, v27, v23
	v_fma_f32 v31, v26, v23, -v9
	v_and_b32_e32 v9, 0xff, v34
	v_fmac_f32_e32 v15, v26, v22
	v_mul_lo_u16 v9, 0xcd, v9
	v_lshrrev_b16 v9, 13, v9
	v_mul_lo_u16 v11, v9, 40
	v_sub_nc_u16 v11, v34, v11
	v_and_b32_e32 v11, 0xff, v11
	v_lshlrev_b32_e32 v26, 5, v11
	s_clause 0x1
	global_load_dwordx4 v[22:25], v26, s[16:17] offset:320
	global_load_dwordx4 v[26:29], v26, s[16:17] offset:304
	s_waitcnt vmcnt(0)
	v_mul_f32_e32 v32, v27, v6
	v_fmac_f32_e32 v32, v26, v5
	v_mul_f32_e32 v5, v27, v5
	v_mul_f32_e32 v27, v21, v23
	v_fma_f32 v5, v26, v6, -v5
	v_mul_f32_e32 v6, v13, v29
	v_fmac_f32_e32 v27, v20, v22
	v_fmac_f32_e32 v6, v12, v28
	v_mul_f32_e32 v12, v12, v29
	s_waitcnt lgkmcnt(0)
	v_mul_f32_e32 v29, v37, v25
	v_fma_f32 v26, v13, v28, -v12
	v_mul_f32_e32 v12, v20, v23
	v_fmac_f32_e32 v29, v36, v24
	v_sub_f32_e32 v13, v18, v14
	v_fma_f32 v28, v21, v22, -v12
	v_mul_f32_e32 v12, v36, v25
	v_sub_f32_e32 v21, v16, v8
	v_sub_f32_e32 v22, v15, v30
	v_fma_f32 v24, v37, v24, -v12
	v_add_f32_e32 v12, v3, v16
	v_add_f32_e32 v21, v21, v22
	;; [unrolled: 1-line block ×6, first 2 shown]
	v_fma_f32 v20, -0.5, v12, v3
	v_sub_f32_e32 v12, v7, v31
	v_fmamk_f32 v33, v12, 0xbf737871, v20
	v_fmac_f32_e32 v20, 0x3f737871, v12
	v_fmac_f32_e32 v33, 0xbf167918, v13
	;; [unrolled: 1-line block ×5, first 2 shown]
	v_add_f32_e32 v21, v16, v15
	v_fma_f32 v35, -0.5, v21, v3
	v_sub_f32_e32 v3, v8, v16
	v_sub_f32_e32 v21, v30, v15
	;; [unrolled: 1-line block ×3, first 2 shown]
	v_fmamk_f32 v36, v13, 0x3f737871, v35
	v_fmac_f32_e32 v35, 0xbf737871, v13
	v_add_f32_e32 v3, v3, v21
	v_sub_f32_e32 v13, v31, v14
	v_fmac_f32_e32 v36, 0xbf167918, v12
	v_fmac_f32_e32 v35, 0x3f167918, v12
	v_sub_f32_e32 v12, v7, v18
	v_fmac_f32_e32 v36, 0x3e9e377a, v3
	v_fmac_f32_e32 v35, 0x3e9e377a, v3
	v_add_f32_e32 v3, v4, v7
	v_add_f32_e32 v12, v12, v13
	;; [unrolled: 1-line block ×6, first 2 shown]
	v_fma_f32 v22, -0.5, v3, v4
	v_sub_f32_e32 v3, v16, v15
	v_fmamk_f32 v38, v3, 0x3f737871, v22
	v_fmac_f32_e32 v22, 0xbf737871, v3
	v_fmac_f32_e32 v38, 0x3f167918, v8
	v_fmac_f32_e32 v22, 0xbf167918, v8
	v_fmac_f32_e32 v38, 0x3e9e377a, v12
	v_fmac_f32_e32 v22, 0x3e9e377a, v12
	v_add_f32_e32 v12, v7, v31
	v_fma_f32 v30, -0.5, v12, v4
	v_sub_f32_e32 v4, v18, v7
	v_sub_f32_e32 v7, v14, v31
	v_fmamk_f32 v39, v8, 0xbf737871, v30
	v_fmac_f32_e32 v30, 0x3f737871, v8
	v_add_f32_e32 v4, v4, v7
	v_sub_f32_e32 v7, v32, v6
	v_sub_f32_e32 v8, v29, v27
	v_fmac_f32_e32 v39, 0x3f167918, v3
	v_fmac_f32_e32 v30, 0xbf167918, v3
	v_add_f32_e32 v3, v1, v32
	v_add_f32_e32 v7, v7, v8
	v_fmac_f32_e32 v39, 0x3e9e377a, v4
	v_fmac_f32_e32 v30, 0x3e9e377a, v4
	v_add_f32_e32 v3, v3, v6
	v_sub_f32_e32 v4, v26, v28
	v_add_f32_e32 v3, v3, v27
	v_add_f32_e32 v21, v3, v29
	;; [unrolled: 1-line block ×3, first 2 shown]
	v_fma_f32 v12, -0.5, v3, v1
	v_sub_f32_e32 v3, v5, v24
	v_fmamk_f32 v16, v3, 0xbf737871, v12
	v_fmac_f32_e32 v12, 0x3f737871, v3
	v_fmac_f32_e32 v16, 0xbf167918, v4
	;; [unrolled: 1-line block ×5, first 2 shown]
	v_add_f32_e32 v7, v32, v29
	v_fma_f32 v13, -0.5, v7, v1
	v_sub_f32_e32 v1, v6, v32
	v_sub_f32_e32 v7, v27, v29
	v_fmamk_f32 v14, v4, 0x3f737871, v13
	v_fmac_f32_e32 v13, 0xbf737871, v4
	v_add_f32_e32 v1, v1, v7
	v_sub_f32_e32 v4, v6, v27
	v_sub_f32_e32 v6, v5, v26
	v_fmac_f32_e32 v14, 0xbf167918, v3
	v_fmac_f32_e32 v13, 0x3f167918, v3
	v_sub_f32_e32 v3, v32, v29
	v_sub_f32_e32 v7, v24, v28
	v_fmac_f32_e32 v14, 0x3e9e377a, v1
	v_fmac_f32_e32 v13, 0x3e9e377a, v1
	v_add_f32_e32 v1, v2, v5
	v_add_f32_e32 v6, v6, v7
	v_mul_lo_u32 v7, v19, v10
	v_add_f32_e32 v1, v1, v26
	v_add_f32_e32 v1, v1, v28
	;; [unrolled: 1-line block ×4, first 2 shown]
	v_fma_f32 v1, -0.5, v1, v2
	v_fmamk_f32 v18, v3, 0x3f737871, v1
	v_fmac_f32_e32 v1, 0xbf737871, v3
	v_fmac_f32_e32 v18, 0x3f167918, v4
	;; [unrolled: 1-line block ×5, first 2 shown]
	v_add_f32_e32 v6, v5, v24
	v_sub_f32_e32 v5, v26, v5
	v_fmac_f32_e32 v2, -0.5, v6
	v_sub_f32_e32 v6, v28, v24
	v_mov_b32_e32 v24, 3
	v_fmamk_f32 v15, v4, 0xbf737871, v2
	v_fmac_f32_e32 v2, 0x3f737871, v4
	v_add_f32_e32 v5, v5, v6
	v_fmac_f32_e32 v15, 0x3f167918, v3
	v_fmac_f32_e32 v2, 0xbf167918, v3
	v_lshlrev_b32_sdwa v3, v24, v7 dst_sel:DWORD dst_unused:UNUSED_PAD src0_sel:DWORD src1_sel:BYTE_0
	v_fmac_f32_e32 v15, 0x3e9e377a, v5
	v_fmac_f32_e32 v2, 0x3e9e377a, v5
	v_bfe_u32 v5, v7, 8, 8
	global_load_dwordx2 v[3:4], v3, s[2:3]
	v_lshl_or_b32 v5, v5, 3, 0x800
	global_load_dwordx2 v[5:6], v5, s[2:3]
	s_waitcnt vmcnt(0)
	v_mul_f32_e32 v8, v4, v6
	v_mul_f32_e32 v6, v3, v6
	v_fma_f32 v8, v3, v5, -v8
	v_bfe_u32 v3, v7, 16, 8
	v_fmac_f32_e32 v6, v4, v5
	v_lshl_or_b32 v3, v3, 3, 0x1000
	global_load_dwordx2 v[3:4], v3, s[2:3]
	s_waitcnt vmcnt(0)
	v_mul_f32_e32 v5, v6, v4
	v_mul_f32_e32 v4, v8, v4
	v_fma_f32 v5, v3, v8, -v5
	v_fmac_f32_e32 v4, v3, v6
	v_mul_f32_e32 v3, v37, v4
	v_mul_f32_e32 v4, v25, v4
	v_fmac_f32_e32 v3, v25, v5
	v_fma_f32 v4, v37, v5, -v4
	v_add_nc_u32_e32 v5, 40, v10
	v_mul_lo_u32 v25, v19, v5
	v_bfe_u32 v7, v25, 8, 8
	v_lshlrev_b32_sdwa v5, v24, v25 dst_sel:DWORD dst_unused:UNUSED_PAD src0_sel:DWORD src1_sel:BYTE_0
	v_lshl_or_b32 v7, v7, 3, 0x800
	s_clause 0x1
	global_load_dwordx2 v[5:6], v5, s[2:3]
	global_load_dwordx2 v[7:8], v7, s[2:3]
	s_waitcnt vmcnt(0)
	v_mul_f32_e32 v26, v6, v8
	v_mul_f32_e32 v8, v5, v8
	v_fma_f32 v26, v5, v7, -v26
	v_bfe_u32 v5, v25, 16, 8
	v_fmac_f32_e32 v8, v6, v7
	v_lshl_or_b32 v5, v5, 3, 0x1000
	global_load_dwordx2 v[5:6], v5, s[2:3]
	s_waitcnt vmcnt(0)
	v_mul_f32_e32 v7, v8, v6
	v_mul_f32_e32 v6, v26, v6
	v_fma_f32 v7, v5, v26, -v7
	v_fmac_f32_e32 v6, v5, v8
	v_mul_f32_e32 v5, v38, v6
	v_mul_f32_e32 v6, v33, v6
	v_fmac_f32_e32 v5, v33, v7
	v_fma_f32 v6, v38, v7, -v6
	v_add_nc_u32_e32 v7, 0x50, v10
	v_mul_lo_u32 v27, v19, v7
	v_bfe_u32 v25, v27, 8, 8
	v_lshlrev_b32_sdwa v7, v24, v27 dst_sel:DWORD dst_unused:UNUSED_PAD src0_sel:DWORD src1_sel:BYTE_0
	v_lshl_or_b32 v25, v25, 3, 0x800
	s_clause 0x1
	global_load_dwordx2 v[7:8], v7, s[2:3]
	;; [unrolled: 25-line block ×4, first 2 shown]
	global_load_dwordx2 v[29:30], v29, s[2:3]
	s_waitcnt vmcnt(0)
	v_mul_f32_e32 v32, v28, v30
	v_mul_f32_e32 v30, v27, v30
	v_fma_f32 v32, v27, v29, -v32
	v_bfe_u32 v27, v31, 16, 8
	v_fmac_f32_e32 v30, v28, v29
	v_lshl_or_b32 v27, v27, 3, 0x1000
	global_load_dwordx2 v[27:28], v27, s[2:3]
	s_waitcnt vmcnt(0)
	v_mul_f32_e32 v29, v30, v28
	v_mul_f32_e32 v28, v32, v28
	v_fma_f32 v29, v27, v32, -v29
	v_fmac_f32_e32 v28, v27, v30
	v_mul_f32_e32 v27, v22, v28
	v_fmac_f32_e32 v27, v20, v29
	v_mul_f32_e32 v20, v20, v28
	v_fma_f32 v28, v22, v29, -v20
	v_mul_lo_u32 v20, v19, v11
	v_lshlrev_b32_sdwa v22, v24, v20 dst_sel:DWORD dst_unused:UNUSED_PAD src0_sel:DWORD src1_sel:BYTE_0
	global_load_dwordx2 v[29:30], v22, s[2:3]
	v_bfe_u32 v22, v20, 8, 8
	v_bfe_u32 v20, v20, 16, 8
	v_lshl_or_b32 v22, v22, 3, 0x800
	v_lshl_or_b32 v20, v20, 3, 0x1000
	global_load_dwordx2 v[31:32], v22, s[2:3]
	s_waitcnt vmcnt(0)
	v_mul_f32_e32 v22, v30, v32
	v_mul_f32_e32 v32, v29, v32
	v_fma_f32 v22, v29, v31, -v22
	v_fmac_f32_e32 v32, v30, v31
	global_load_dwordx2 v[29:30], v20, s[2:3]
	s_waitcnt vmcnt(0)
	v_mul_f32_e32 v20, v32, v30
	v_fma_f32 v31, v29, v22, -v20
	v_mul_f32_e32 v22, v22, v30
	v_fmac_f32_e32 v22, v29, v32
	v_mul_f32_e32 v20, v23, v22
	v_fmac_f32_e32 v20, v21, v31
	v_mul_f32_e32 v21, v21, v22
	v_add_nc_u32_e32 v22, 40, v11
	v_fma_f32 v21, v23, v31, -v21
	v_mul_lo_u32 v31, v19, v22
	v_bfe_u32 v29, v31, 8, 8
	v_lshlrev_b32_sdwa v22, v24, v31 dst_sel:DWORD dst_unused:UNUSED_PAD src0_sel:DWORD src1_sel:BYTE_0
	v_lshl_or_b32 v29, v29, 3, 0x800
	s_clause 0x1
	global_load_dwordx2 v[22:23], v22, s[2:3]
	global_load_dwordx2 v[29:30], v29, s[2:3]
	s_waitcnt vmcnt(0)
	v_mul_f32_e32 v32, v23, v30
	v_mul_f32_e32 v30, v22, v30
	v_fma_f32 v32, v22, v29, -v32
	v_bfe_u32 v22, v31, 16, 8
	v_fmac_f32_e32 v30, v23, v29
	v_lshl_or_b32 v22, v22, 3, 0x1000
	global_load_dwordx2 v[22:23], v22, s[2:3]
	s_waitcnt vmcnt(0)
	v_mul_f32_e32 v29, v30, v23
	v_mul_f32_e32 v23, v32, v23
	v_fma_f32 v29, v22, v32, -v29
	v_fmac_f32_e32 v23, v22, v30
	v_mul_f32_e32 v22, v18, v23
	v_fmac_f32_e32 v22, v16, v29
	v_mul_f32_e32 v16, v16, v23
	v_fma_f32 v23, v18, v29, -v16
	v_add_nc_u32_e32 v16, 0x50, v11
	v_mul_lo_u32 v16, v19, v16
	v_lshlrev_b32_sdwa v18, v24, v16 dst_sel:DWORD dst_unused:UNUSED_PAD src0_sel:DWORD src1_sel:BYTE_0
	global_load_dwordx2 v[29:30], v18, s[2:3]
	v_bfe_u32 v18, v16, 8, 8
	v_bfe_u32 v16, v16, 16, 8
	v_lshl_or_b32 v18, v18, 3, 0x800
	v_lshl_or_b32 v16, v16, 3, 0x1000
	global_load_dwordx2 v[31:32], v18, s[2:3]
	s_waitcnt vmcnt(0)
	v_mul_f32_e32 v18, v30, v32
	v_mul_f32_e32 v32, v29, v32
	v_fma_f32 v18, v29, v31, -v18
	v_fmac_f32_e32 v32, v30, v31
	global_load_dwordx2 v[29:30], v16, s[2:3]
	s_waitcnt vmcnt(0)
	v_mul_f32_e32 v16, v32, v30
	v_fma_f32 v16, v29, v18, -v16
	v_mul_f32_e32 v18, v18, v30
	v_fmac_f32_e32 v18, v29, v32
	v_mul_f32_e32 v29, v15, v18
	v_fmac_f32_e32 v29, v14, v16
	v_mul_f32_e32 v14, v14, v18
	v_fma_f32 v30, v15, v16, -v14
	v_add_nc_u32_e32 v14, 0x78, v11
	v_mul_lo_u32 v16, v19, v14
	v_bfe_u32 v18, v16, 8, 8
	v_lshlrev_b32_sdwa v14, v24, v16 dst_sel:DWORD dst_unused:UNUSED_PAD src0_sel:DWORD src1_sel:BYTE_0
	v_lshl_or_b32 v18, v18, 3, 0x800
	s_clause 0x1
	global_load_dwordx2 v[14:15], v14, s[2:3]
	global_load_dwordx2 v[31:32], v18, s[2:3]
	s_waitcnt vmcnt(0)
	v_mul_f32_e32 v18, v15, v32
	v_mul_f32_e32 v32, v14, v32
	v_fma_f32 v18, v14, v31, -v18
	v_bfe_u32 v14, v16, 16, 8
	v_fmac_f32_e32 v32, v15, v31
	v_lshl_or_b32 v14, v14, 3, 0x1000
	global_load_dwordx2 v[14:15], v14, s[2:3]
	s_waitcnt vmcnt(0)
	v_mul_f32_e32 v16, v32, v15
	v_mul_f32_e32 v15, v18, v15
	v_fma_f32 v16, v14, v18, -v16
	v_fmac_f32_e32 v15, v14, v32
	v_mul_f32_e32 v14, v2, v15
	v_fmac_f32_e32 v14, v13, v16
	v_mul_f32_e32 v13, v13, v15
	v_fma_f32 v15, v2, v16, -v13
	v_add_nc_u32_e32 v2, 0xa0, v11
	v_mul_lo_u32 v2, v19, v2
	v_lshlrev_b32_sdwa v11, v24, v2 dst_sel:DWORD dst_unused:UNUSED_PAD src0_sel:DWORD src1_sel:BYTE_0
	global_load_dwordx2 v[18:19], v11, s[2:3]
	v_bfe_u32 v11, v2, 8, 8
	v_bfe_u32 v2, v2, 16, 8
	v_lshl_or_b32 v11, v11, 3, 0x800
	v_lshl_or_b32 v2, v2, 3, 0x1000
	global_load_dwordx2 v[31:32], v11, s[2:3]
	s_waitcnt vmcnt(0)
	v_mul_f32_e32 v11, v19, v32
	v_mul_f32_e32 v13, v18, v32
	v_fma_f32 v11, v18, v31, -v11
	v_fmac_f32_e32 v13, v19, v31
	global_load_dwordx2 v[18:19], v2, s[2:3]
	s_waitcnt vmcnt(0)
	v_mul_f32_e32 v16, v11, v19
	v_mul_f32_e32 v2, v13, v19
	v_fmac_f32_e32 v16, v18, v13
	v_fma_f32 v2, v18, v11, -v2
	v_mul_f32_e32 v11, v1, v16
	v_fmac_f32_e32 v11, v12, v2
	v_mul_f32_e32 v12, v12, v16
	v_fma_f32 v12, v1, v2, -v12
	v_mul_lo_u32 v1, s12, v0
	v_add_lshl_u32 v1, v17, v1, 3
	v_cndmask_b32_e32 v1, -1, v1, vcc_lo
	buffer_store_dwordx2 v[3:4], v1, s[8:11], s1 offen
	v_add_nc_u32_e32 v1, 40, v0
	v_mul_lo_u32 v1, s12, v1
	v_add_lshl_u32 v1, v17, v1, 3
	v_cndmask_b32_e32 v1, -1, v1, vcc_lo
	buffer_store_dwordx2 v[5:6], v1, s[8:11], s1 offen
	v_add_nc_u32_e32 v1, 0x50, v0
	;; [unrolled: 5-line block ×3, first 2 shown]
	v_add_nc_u32_e32 v0, 0xa0, v0
	v_mul_lo_u32 v1, s12, v1
	v_mul_lo_u32 v0, s12, v0
	v_add_lshl_u32 v1, v17, v1, 3
	v_add_lshl_u32 v0, v17, v0, 3
	v_cndmask_b32_e32 v1, -1, v1, vcc_lo
	v_cndmask_b32_e32 v0, -1, v0, vcc_lo
	buffer_store_dwordx2 v[25:26], v1, s[8:11], s1 offen
	buffer_store_dwordx2 v[27:28], v0, s[8:11], s1 offen
	v_and_b32_e32 v0, 0xffff, v9
	v_mad_u32_u24 v0, 0xa0, v0, v34
	v_mul_lo_u32 v1, s12, v0
	v_add_lshl_u32 v1, v17, v1, 3
	v_cndmask_b32_e32 v1, -1, v1, vcc_lo
	buffer_store_dwordx2 v[20:21], v1, s[8:11], s1 offen
	v_add_nc_u32_e32 v1, 40, v0
	v_mul_lo_u32 v1, s12, v1
	v_add_lshl_u32 v1, v17, v1, 3
	v_cndmask_b32_e32 v1, -1, v1, vcc_lo
	buffer_store_dwordx2 v[22:23], v1, s[8:11], s1 offen
	v_add_nc_u32_e32 v1, 0x50, v0
	;; [unrolled: 5-line block ×3, first 2 shown]
	v_add_nc_u32_e32 v0, 0xa0, v0
	v_mul_lo_u32 v1, s12, v1
	v_mul_lo_u32 v0, s12, v0
	v_add_lshl_u32 v1, v17, v1, 3
	v_add_lshl_u32 v0, v17, v0, 3
	v_cndmask_b32_e32 v1, -1, v1, vcc_lo
	v_cndmask_b32_e32 v0, -1, v0, vcc_lo
	buffer_store_dwordx2 v[14:15], v1, s[8:11], s1 offen
	buffer_store_dwordx2 v[11:12], v0, s[8:11], s1 offen
	s_endpgm
	.section	.rodata,"a",@progbits
	.p2align	6, 0x0
	.amdhsa_kernel fft_rtc_back_len200_factors_2_4_5_5_wgs_320_tpt_20_dim3_sp_ip_CI_sbcc_twdbase8_3step_dirReg_intrinsicReadWrite
		.amdhsa_group_segment_fixed_size 0
		.amdhsa_private_segment_fixed_size 0
		.amdhsa_kernarg_size 88
		.amdhsa_user_sgpr_count 6
		.amdhsa_user_sgpr_private_segment_buffer 1
		.amdhsa_user_sgpr_dispatch_ptr 0
		.amdhsa_user_sgpr_queue_ptr 0
		.amdhsa_user_sgpr_kernarg_segment_ptr 1
		.amdhsa_user_sgpr_dispatch_id 0
		.amdhsa_user_sgpr_flat_scratch_init 0
		.amdhsa_user_sgpr_private_segment_size 0
		.amdhsa_wavefront_size32 1
		.amdhsa_uses_dynamic_stack 0
		.amdhsa_system_sgpr_private_segment_wavefront_offset 0
		.amdhsa_system_sgpr_workgroup_id_x 1
		.amdhsa_system_sgpr_workgroup_id_y 0
		.amdhsa_system_sgpr_workgroup_id_z 0
		.amdhsa_system_sgpr_workgroup_info 0
		.amdhsa_system_vgpr_workitem_id 0
		.amdhsa_next_free_vgpr 56
		.amdhsa_next_free_sgpr 28
		.amdhsa_reserve_vcc 1
		.amdhsa_reserve_flat_scratch 0
		.amdhsa_float_round_mode_32 0
		.amdhsa_float_round_mode_16_64 0
		.amdhsa_float_denorm_mode_32 3
		.amdhsa_float_denorm_mode_16_64 3
		.amdhsa_dx10_clamp 1
		.amdhsa_ieee_mode 1
		.amdhsa_fp16_overflow 0
		.amdhsa_workgroup_processor_mode 1
		.amdhsa_memory_ordered 1
		.amdhsa_forward_progress 0
		.amdhsa_shared_vgpr_count 0
		.amdhsa_exception_fp_ieee_invalid_op 0
		.amdhsa_exception_fp_denorm_src 0
		.amdhsa_exception_fp_ieee_div_zero 0
		.amdhsa_exception_fp_ieee_overflow 0
		.amdhsa_exception_fp_ieee_underflow 0
		.amdhsa_exception_fp_ieee_inexact 0
		.amdhsa_exception_int_div_zero 0
	.end_amdhsa_kernel
	.text
.Lfunc_end0:
	.size	fft_rtc_back_len200_factors_2_4_5_5_wgs_320_tpt_20_dim3_sp_ip_CI_sbcc_twdbase8_3step_dirReg_intrinsicReadWrite, .Lfunc_end0-fft_rtc_back_len200_factors_2_4_5_5_wgs_320_tpt_20_dim3_sp_ip_CI_sbcc_twdbase8_3step_dirReg_intrinsicReadWrite
                                        ; -- End function
	.section	.AMDGPU.csdata,"",@progbits
; Kernel info:
; codeLenInByte = 6096
; NumSgprs: 30
; NumVgprs: 56
; ScratchSize: 0
; MemoryBound: 0
; FloatMode: 240
; IeeeMode: 1
; LDSByteSize: 0 bytes/workgroup (compile time only)
; SGPRBlocks: 3
; VGPRBlocks: 6
; NumSGPRsForWavesPerEU: 30
; NumVGPRsForWavesPerEU: 56
; Occupancy: 15
; WaveLimiterHint : 0
; COMPUTE_PGM_RSRC2:SCRATCH_EN: 0
; COMPUTE_PGM_RSRC2:USER_SGPR: 6
; COMPUTE_PGM_RSRC2:TRAP_HANDLER: 0
; COMPUTE_PGM_RSRC2:TGID_X_EN: 1
; COMPUTE_PGM_RSRC2:TGID_Y_EN: 0
; COMPUTE_PGM_RSRC2:TGID_Z_EN: 0
; COMPUTE_PGM_RSRC2:TIDIG_COMP_CNT: 0
	.text
	.p2alignl 6, 3214868480
	.fill 48, 4, 3214868480
	.type	__hip_cuid_1e8fda6fd1e36135,@object ; @__hip_cuid_1e8fda6fd1e36135
	.section	.bss,"aw",@nobits
	.globl	__hip_cuid_1e8fda6fd1e36135
__hip_cuid_1e8fda6fd1e36135:
	.byte	0                               ; 0x0
	.size	__hip_cuid_1e8fda6fd1e36135, 1

	.ident	"AMD clang version 19.0.0git (https://github.com/RadeonOpenCompute/llvm-project roc-6.4.0 25133 c7fe45cf4b819c5991fe208aaa96edf142730f1d)"
	.section	".note.GNU-stack","",@progbits
	.addrsig
	.addrsig_sym __hip_cuid_1e8fda6fd1e36135
	.amdgpu_metadata
---
amdhsa.kernels:
  - .args:
      - .actual_access:  read_only
        .address_space:  global
        .offset:         0
        .size:           8
        .value_kind:     global_buffer
      - .address_space:  global
        .offset:         8
        .size:           8
        .value_kind:     global_buffer
      - .actual_access:  read_only
        .address_space:  global
        .offset:         16
        .size:           8
        .value_kind:     global_buffer
      - .actual_access:  read_only
        .address_space:  global
        .offset:         24
        .size:           8
        .value_kind:     global_buffer
      - .offset:         32
        .size:           8
        .value_kind:     by_value
      - .actual_access:  read_only
        .address_space:  global
        .offset:         40
        .size:           8
        .value_kind:     global_buffer
      - .actual_access:  read_only
        .address_space:  global
        .offset:         48
        .size:           8
        .value_kind:     global_buffer
      - .offset:         56
        .size:           4
        .value_kind:     by_value
      - .actual_access:  read_only
        .address_space:  global
        .offset:         64
        .size:           8
        .value_kind:     global_buffer
      - .actual_access:  read_only
        .address_space:  global
        .offset:         72
        .size:           8
        .value_kind:     global_buffer
      - .address_space:  global
        .offset:         80
        .size:           8
        .value_kind:     global_buffer
    .group_segment_fixed_size: 0
    .kernarg_segment_align: 8
    .kernarg_segment_size: 88
    .language:       OpenCL C
    .language_version:
      - 2
      - 0
    .max_flat_workgroup_size: 320
    .name:           fft_rtc_back_len200_factors_2_4_5_5_wgs_320_tpt_20_dim3_sp_ip_CI_sbcc_twdbase8_3step_dirReg_intrinsicReadWrite
    .private_segment_fixed_size: 0
    .sgpr_count:     30
    .sgpr_spill_count: 0
    .symbol:         fft_rtc_back_len200_factors_2_4_5_5_wgs_320_tpt_20_dim3_sp_ip_CI_sbcc_twdbase8_3step_dirReg_intrinsicReadWrite.kd
    .uniform_work_group_size: 1
    .uses_dynamic_stack: false
    .vgpr_count:     56
    .vgpr_spill_count: 0
    .wavefront_size: 32
    .workgroup_processor_mode: 1
amdhsa.target:   amdgcn-amd-amdhsa--gfx1030
amdhsa.version:
  - 1
  - 2
...

	.end_amdgpu_metadata
